;; amdgpu-corpus repo=ROCm/rocFFT kind=compiled arch=gfx1201 opt=O3
	.text
	.amdgcn_target "amdgcn-amd-amdhsa--gfx1201"
	.amdhsa_code_object_version 6
	.protected	fft_rtc_back_len216_factors_6_4_3_3_wgs_252_tpt_18_dim2_sp_ip_CI_sbcc_twdbase8_3step_dirReg ; -- Begin function fft_rtc_back_len216_factors_6_4_3_3_wgs_252_tpt_18_dim2_sp_ip_CI_sbcc_twdbase8_3step_dirReg
	.globl	fft_rtc_back_len216_factors_6_4_3_3_wgs_252_tpt_18_dim2_sp_ip_CI_sbcc_twdbase8_3step_dirReg
	.p2align	8
	.type	fft_rtc_back_len216_factors_6_4_3_3_wgs_252_tpt_18_dim2_sp_ip_CI_sbcc_twdbase8_3step_dirReg,@function
fft_rtc_back_len216_factors_6_4_3_3_wgs_252_tpt_18_dim2_sp_ip_CI_sbcc_twdbase8_3step_dirReg: ; @fft_rtc_back_len216_factors_6_4_3_3_wgs_252_tpt_18_dim2_sp_ip_CI_sbcc_twdbase8_3step_dirReg
; %bb.0:
	s_load_b128 s[4:7], s[0:1], 0x10
	s_mov_b32 s9, 0
	s_mov_b32 s2, 0x49240800
	;; [unrolled: 1-line block ×4, first 2 shown]
	s_mov_b32 s17, -1
	s_add_nc_u64 s[2:3], s[8:9], s[2:3]
	s_delay_alu instid0(SALU_CYCLE_1) | instskip(NEXT) | instid1(SALU_CYCLE_1)
	s_add_co_i32 s3, s3, 0x12492460
	s_mul_u64 s[10:11], s[2:3], -14
	s_delay_alu instid0(SALU_CYCLE_1)
	s_mul_hi_u32 s8, s2, s10
	s_mul_i32 s15, s3, s10
	s_mul_hi_u32 s14, s3, s10
	s_mul_hi_u32 s16, s3, s11
	s_mul_i32 s10, s3, s11
	s_wait_kmcnt 0x0
	s_load_b64 s[12:13], s[4:5], 0x8
	s_mul_hi_u32 s5, s2, s11
	s_mul_i32 s4, s2, s11
	s_delay_alu instid0(SALU_CYCLE_1) | instskip(NEXT) | instid1(SALU_CYCLE_1)
	s_add_nc_u64 s[4:5], s[8:9], s[4:5]
	s_add_co_u32 s4, s4, s15
	s_add_co_ci_u32 s8, s5, s14
	s_add_co_ci_u32 s11, s16, 0
	s_delay_alu instid0(SALU_CYCLE_1) | instskip(NEXT) | instid1(SALU_CYCLE_1)
	s_add_nc_u64 s[4:5], s[8:9], s[10:11]
	v_add_co_u32 v1, s2, s2, s4
	s_delay_alu instid0(VALU_DEP_1) | instskip(SKIP_1) | instid1(VALU_DEP_1)
	s_cmp_lg_u32 s2, 0
	s_add_co_ci_u32 s10, s3, s5
	v_readfirstlane_b32 s11, v1
	s_wait_kmcnt 0x0
	s_add_nc_u64 s[2:3], s[12:13], -1
	s_wait_alu 0xfffe
	s_mul_hi_u32 s5, s2, s10
	s_mul_i32 s4, s2, s10
	s_mul_hi_u32 s8, s2, s11
	s_mul_hi_u32 s15, s3, s11
	s_mul_i32 s11, s3, s11
	s_wait_alu 0xfffe
	s_add_nc_u64 s[4:5], s[8:9], s[4:5]
	s_mul_hi_u32 s14, s3, s10
	s_wait_alu 0xfffe
	s_add_co_u32 s4, s4, s11
	s_add_co_ci_u32 s8, s5, s15
	s_mul_i32 s10, s3, s10
	s_add_co_ci_u32 s11, s14, 0
	s_delay_alu instid0(SALU_CYCLE_1) | instskip(SKIP_2) | instid1(SALU_CYCLE_1)
	s_add_nc_u64 s[4:5], s[8:9], s[10:11]
	s_wait_alu 0xfffe
	s_mul_u64 s[10:11], s[4:5], 14
	v_sub_co_u32 v1, s2, s2, s10
	s_delay_alu instid0(VALU_DEP_1) | instskip(SKIP_1) | instid1(VALU_DEP_1)
	s_cmp_lg_u32 s2, 0
	s_sub_co_ci_u32 s14, s3, s11
	v_sub_co_u32 v2, s8, v1, 14
	s_delay_alu instid0(VALU_DEP_1) | instskip(SKIP_2) | instid1(VALU_DEP_1)
	s_cmp_lg_u32 s8, 0
	s_add_nc_u64 s[10:11], s[4:5], 2
	s_sub_co_ci_u32 s8, s14, 0
	v_readfirstlane_b32 s2, v2
	s_delay_alu instid0(VALU_DEP_1)
	s_cmp_gt_u32 s2, 13
	s_add_nc_u64 s[2:3], s[4:5], 1
	s_cselect_b32 s15, -1, 0
	s_cmp_eq_u32 s8, 0
	s_cselect_b32 s8, s15, -1
	v_readfirstlane_b32 s15, v1
	s_cmp_lg_u32 s8, 0
	s_wait_alu 0xfffe
	s_cselect_b32 s8, s10, s2
	s_cselect_b32 s10, s11, s3
	s_cmp_gt_u32 s15, 13
	s_cselect_b32 s2, -1, 0
	s_cmp_eq_u32 s14, 0
	s_mov_b64 s[14:15], 0
	s_wait_alu 0xfffe
	s_cselect_b32 s11, s2, -1
	s_load_b64 s[2:3], s[6:7], 0x0
	s_cmp_lg_u32 s11, 0
	s_cselect_b32 s5, s10, s5
	s_cselect_b32 s4, s8, s4
	s_mov_b32 s8, ttmp9
	s_wait_alu 0xfffe
	s_add_nc_u64 s[10:11], s[4:5], 1
	s_wait_alu 0xfffe
	v_cmp_lt_u64_e64 s4, s[8:9], s[10:11]
	s_delay_alu instid0(VALU_DEP_1)
	s_and_b32 vcc_lo, exec_lo, s4
	s_cbranch_vccnz .LBB0_2
; %bb.1:
	v_cvt_f32_u32_e32 v1, s10
	s_sub_co_i32 s5, 0, s10
	s_delay_alu instid0(VALU_DEP_1) | instskip(NEXT) | instid1(TRANS32_DEP_1)
	v_rcp_iflag_f32_e32 v1, v1
	v_mul_f32_e32 v1, 0x4f7ffffe, v1
	s_delay_alu instid0(VALU_DEP_1) | instskip(NEXT) | instid1(VALU_DEP_1)
	v_cvt_u32_f32_e32 v1, v1
	v_readfirstlane_b32 s4, v1
	s_wait_alu 0xfffe
	s_delay_alu instid0(VALU_DEP_1)
	s_mul_i32 s5, s5, s4
	s_wait_alu 0xfffe
	s_mul_hi_u32 s5, s4, s5
	s_wait_alu 0xfffe
	s_add_co_i32 s4, s4, s5
	s_wait_alu 0xfffe
	s_mul_hi_u32 s4, s8, s4
	s_wait_alu 0xfffe
	s_mul_i32 s5, s4, s10
	s_add_co_i32 s14, s4, 1
	s_wait_alu 0xfffe
	s_sub_co_i32 s5, s8, s5
	s_wait_alu 0xfffe
	s_sub_co_i32 s15, s5, s10
	s_cmp_ge_u32 s5, s10
	s_cselect_b32 s4, s14, s4
	s_cselect_b32 s5, s15, s5
	s_wait_alu 0xfffe
	s_add_co_i32 s14, s4, 1
	s_cmp_ge_u32 s5, s10
	s_mov_b32 s15, s9
	s_cselect_b32 s14, s14, s4
.LBB0_2:
	v_mul_u32_u24_e32 v1, 0x124a, v0
	s_load_b128 s[4:7], s[6:7], 0x8
	s_mul_u64 s[10:11], s[14:15], s[10:11]
	s_wait_alu 0xfffe
	s_sub_nc_u64 s[18:19], s[8:9], s[10:11]
	v_lshrrev_b32_e32 v31, 16, v1
	s_clause 0x1
	s_load_b64 s[10:11], s[0:1], 0x0
	s_load_b64 s[8:9], s[0:1], 0x50
	s_mul_u64 s[18:19], s[18:19], 14
	s_delay_alu instid0(SALU_CYCLE_1) | instskip(SKIP_3) | instid1(VALU_DEP_3)
	s_add_nc_u64 s[20:21], s[18:19], 14
	v_mul_lo_u16 v1, v31, 14
	v_cmp_gt_u64_e64 s22, s[20:21], s[12:13]
	v_cmp_le_u64_e64 s16, s[20:21], s[12:13]
	v_sub_nc_u16 v1, v0, v1
	s_delay_alu instid0(VALU_DEP_3) | instskip(NEXT) | instid1(VALU_DEP_1)
	s_and_b32 vcc_lo, exec_lo, s22
	v_and_b32_e32 v28, 0xffff, v1
	s_wait_kmcnt 0x0
	s_mul_u64 s[6:7], s[6:7], s[14:15]
	s_mul_u64 s[20:21], s[18:19], s[4:5]
	s_wait_alu 0xfffe
	s_add_nc_u64 s[6:7], s[6:7], s[20:21]
	v_add_co_u32 v1, s14, s18, v28
	s_delay_alu instid0(VALU_DEP_1)
	v_add_co_ci_u32_e64 v2, null, s19, 0, s14
	s_cbranch_vccz .LBB0_8
; %bb.3:
	s_mov_b32 s14, exec_lo
                                        ; implicit-def: $vgpr30
                                        ; implicit-def: $vgpr29
                                        ; implicit-def: $vgpr27
	s_delay_alu instid0(VALU_DEP_1)
	v_cmpx_le_u64_e64 s[12:13], v[1:2]
	s_wait_alu 0xfffe
	s_xor_b32 s14, exec_lo, s14
; %bb.4:
	v_add_nc_u32_e32 v30, 18, v31
	v_add_nc_u32_e32 v29, 54, v31
	;; [unrolled: 1-line block ×3, first 2 shown]
; %bb.5:
	s_wait_alu 0xfffe
	s_or_saveexec_b32 s14, s14
                                        ; implicit-def: $vgpr7
                                        ; implicit-def: $vgpr13
                                        ; implicit-def: $vgpr15
                                        ; implicit-def: $vgpr19
                                        ; implicit-def: $vgpr17
                                        ; implicit-def: $vgpr21
                                        ; implicit-def: $vgpr11
                                        ; implicit-def: $vgpr23
                                        ; implicit-def: $vgpr25
                                        ; implicit-def: $vgpr9
                                        ; implicit-def: $vgpr5
                                        ; implicit-def: $vgpr3
	s_wait_alu 0xfffe
	s_xor_b32 exec_lo, exec_lo, s14
	s_cbranch_execz .LBB0_7
; %bb.6:
	v_mad_co_u64_u32 v[3:4], null, s4, v28, 0
	v_mad_co_u64_u32 v[5:6], null, s2, v31, 0
	v_add_nc_u32_e32 v17, 0x6c, v31
	s_lshl_b64 s[18:19], s[6:7], 3
	v_add_nc_u32_e32 v29, 54, v31
	s_wait_alu 0xfffe
	s_add_nc_u64 s[18:19], s[8:9], s[18:19]
	v_add_nc_u32_e32 v37, 0xa2, v31
	v_add_nc_u32_e32 v20, 0xb4, v31
	v_mad_co_u64_u32 v[7:8], null, s5, v28, v[4:5]
	v_add_nc_u32_e32 v27, 36, v31
	v_add_nc_u32_e32 v30, 18, v31
	;; [unrolled: 1-line block ×5, first 2 shown]
	v_mov_b32_e32 v4, v7
	v_mad_co_u64_u32 v[12:13], null, s3, v31, v[6:7]
	v_add_nc_u32_e32 v15, 0x48, v31
	v_mad_co_u64_u32 v[8:9], null, s2, v27, 0
	s_delay_alu instid0(VALU_DEP_4)
	v_lshlrev_b64_e32 v[3:4], 3, v[3:4]
	v_mad_co_u64_u32 v[13:14], null, s2, v17, 0
	v_mov_b32_e32 v6, v12
	v_mad_co_u64_u32 v[10:11], null, s2, v15, 0
	v_mov_b32_e32 v7, v9
	s_wait_alu 0xfffe
	v_add_co_u32 v39, vcc_lo, s18, v3
	v_lshlrev_b64_e32 v[5:6], 3, v[5:6]
	v_add_co_ci_u32_e32 v40, vcc_lo, s19, v4, vcc_lo
	v_mov_b32_e32 v9, v11
	v_mad_co_u64_u32 v[18:19], null, s2, v30, 0
	s_delay_alu instid0(VALU_DEP_4) | instskip(NEXT) | instid1(VALU_DEP_3)
	v_add_co_u32 v3, vcc_lo, v39, v5
	v_mad_co_u64_u32 v[15:16], null, s3, v15, v[9:10]
	v_add_nc_u32_e32 v16, 0x90, v31
	v_mad_co_u64_u32 v[11:12], null, s3, v27, v[7:8]
	s_wait_alu 0xfffd
	v_add_co_ci_u32_e32 v4, vcc_lo, v40, v6, vcc_lo
	v_mov_b32_e32 v5, v14
	s_delay_alu instid0(VALU_DEP_3) | instskip(SKIP_1) | instid1(VALU_DEP_2)
	v_mov_b32_e32 v9, v11
	v_mov_b32_e32 v11, v15
	v_lshlrev_b64_e32 v[6:7], 3, v[8:9]
	s_delay_alu instid0(VALU_DEP_1) | instskip(NEXT) | instid1(VALU_DEP_3)
	v_mad_co_u64_u32 v[8:9], null, s3, v17, v[5:6]
	v_lshlrev_b64_e32 v[9:10], 3, v[10:11]
	v_mad_co_u64_u32 v[11:12], null, s2, v16, 0
	v_add_co_u32 v5, vcc_lo, v39, v6
	s_wait_alu 0xfffd
	v_add_co_ci_u32_e32 v6, vcc_lo, v40, v7, vcc_lo
	v_mov_b32_e32 v14, v8
	v_add_co_u32 v7, vcc_lo, v39, v9
	v_mov_b32_e32 v9, v12
	s_wait_alu 0xfffd
	v_add_co_ci_u32_e32 v8, vcc_lo, v40, v10, vcc_lo
	v_lshlrev_b64_e32 v[12:13], 3, v[13:14]
	v_mad_co_u64_u32 v[14:15], null, s2, v20, 0
	v_mad_co_u64_u32 v[9:10], null, s3, v16, v[9:10]
	s_delay_alu instid0(VALU_DEP_3) | instskip(SKIP_1) | instid1(VALU_DEP_4)
	v_add_co_u32 v16, vcc_lo, v39, v12
	s_wait_alu 0xfffd
	v_add_co_ci_u32_e32 v17, vcc_lo, v40, v13, vcc_lo
	s_delay_alu instid0(VALU_DEP_4) | instskip(NEXT) | instid1(VALU_DEP_4)
	v_dual_mov_b32 v10, v15 :: v_dual_mov_b32 v13, v19
	v_mov_b32_e32 v12, v9
	s_delay_alu instid0(VALU_DEP_2)
	v_mad_co_u64_u32 v[20:21], null, s3, v20, v[10:11]
	s_clause 0x3
	global_load_b64 v[3:4], v[3:4], off
	global_load_b64 v[5:6], v[5:6], off
	;; [unrolled: 1-line block ×4, first 2 shown]
	v_mad_co_u64_u32 v[16:17], null, s3, v30, v[13:14]
	v_lshlrev_b64_e32 v[11:12], 3, v[11:12]
	v_mov_b32_e32 v15, v20
	v_mad_co_u64_u32 v[20:21], null, s2, v29, 0
	s_delay_alu instid0(VALU_DEP_4) | instskip(SKIP_1) | instid1(VALU_DEP_4)
	v_mov_b32_e32 v19, v16
	v_mad_co_u64_u32 v[16:17], null, s2, v24, 0
	v_lshlrev_b64_e32 v[13:14], 3, v[14:15]
	v_add_co_u32 v11, vcc_lo, v39, v11
	v_mov_b32_e32 v15, v21
	s_wait_alu 0xfffd
	v_add_co_ci_u32_e32 v12, vcc_lo, v40, v12, vcc_lo
	s_delay_alu instid0(VALU_DEP_4) | instskip(NEXT) | instid1(VALU_DEP_3)
	v_add_co_u32 v13, vcc_lo, v39, v13
	v_mad_co_u64_u32 v[21:22], null, s3, v29, v[15:16]
	v_mad_co_u64_u32 v[22:23], null, s2, v32, 0
	v_mov_b32_e32 v15, v17
	v_lshlrev_b64_e32 v[17:18], 3, v[18:19]
	s_wait_alu 0xfffd
	v_add_co_ci_u32_e32 v14, vcc_lo, v40, v14, vcc_lo
	s_delay_alu instid0(VALU_DEP_3) | instskip(SKIP_3) | instid1(VALU_DEP_3)
	v_mad_co_u64_u32 v[24:25], null, s3, v24, v[15:16]
	v_mov_b32_e32 v15, v23
	v_mad_co_u64_u32 v[25:26], null, s2, v37, 0
	v_add_co_u32 v35, vcc_lo, v39, v17
	v_mad_co_u64_u32 v[32:33], null, s3, v32, v[15:16]
	v_mad_co_u64_u32 v[33:34], null, s2, v38, 0
	s_delay_alu instid0(VALU_DEP_4)
	v_mov_b32_e32 v15, v26
	v_mov_b32_e32 v17, v24
	s_wait_alu 0xfffd
	v_add_co_ci_u32_e32 v36, vcc_lo, v40, v18, vcc_lo
	v_lshlrev_b64_e32 v[18:19], 3, v[20:21]
	v_mad_co_u64_u32 v[20:21], null, s3, v37, v[15:16]
	v_lshlrev_b64_e32 v[16:17], 3, v[16:17]
	v_mov_b32_e32 v15, v34
	v_mov_b32_e32 v23, v32
	v_add_co_u32 v18, vcc_lo, v39, v18
	s_wait_alu 0xfffd
	v_add_co_ci_u32_e32 v19, vcc_lo, v40, v19, vcc_lo
	v_mad_co_u64_u32 v[37:38], null, s3, v38, v[15:16]
	v_mov_b32_e32 v26, v20
	v_lshlrev_b64_e32 v[21:22], 3, v[22:23]
	v_add_co_u32 v15, vcc_lo, v39, v16
	s_wait_alu 0xfffd
	v_add_co_ci_u32_e32 v16, vcc_lo, v40, v17, vcc_lo
	v_mov_b32_e32 v34, v37
	v_lshlrev_b64_e32 v[23:24], 3, v[25:26]
	v_add_co_u32 v37, vcc_lo, v39, v21
	s_wait_alu 0xfffd
	v_add_co_ci_u32_e32 v38, vcc_lo, v40, v22, vcc_lo
	v_lshlrev_b64_e32 v[20:21], 3, v[33:34]
	s_delay_alu instid0(VALU_DEP_4) | instskip(SKIP_2) | instid1(VALU_DEP_3)
	v_add_co_u32 v32, vcc_lo, v39, v23
	s_wait_alu 0xfffd
	v_add_co_ci_u32_e32 v33, vcc_lo, v40, v24, vcc_lo
	v_add_co_u32 v39, vcc_lo, v39, v20
	s_wait_alu 0xfffd
	v_add_co_ci_u32_e32 v40, vcc_lo, v40, v21, vcc_lo
	s_clause 0x7
	global_load_b64 v[25:26], v[11:12], off
	global_load_b64 v[23:24], v[13:14], off
	;; [unrolled: 1-line block ×8, first 2 shown]
.LBB0_7:
	s_or_b32 exec_lo, exec_lo, s14
	s_cbranch_execz .LBB0_9
	s_branch .LBB0_10
.LBB0_8:
                                        ; implicit-def: $vgpr7
                                        ; implicit-def: $vgpr13
                                        ; implicit-def: $vgpr15
                                        ; implicit-def: $vgpr19
                                        ; implicit-def: $vgpr17
                                        ; implicit-def: $vgpr21
                                        ; implicit-def: $vgpr11
                                        ; implicit-def: $vgpr23
                                        ; implicit-def: $vgpr25
                                        ; implicit-def: $vgpr9
                                        ; implicit-def: $vgpr5
                                        ; implicit-def: $vgpr3
                                        ; implicit-def: $vgpr30
                                        ; implicit-def: $vgpr29
                                        ; implicit-def: $vgpr27
	s_and_not1_b32 vcc_lo, exec_lo, s17
	s_cbranch_vccnz .LBB0_10
.LBB0_9:
	s_wait_loadcnt 0xb
	v_mad_co_u64_u32 v[3:4], null, s4, v28, 0
	s_wait_loadcnt 0xa
	v_mad_co_u64_u32 v[5:6], null, s2, v31, 0
	s_wait_loadcnt 0x2
	v_add_nc_u32_e32 v17, 0x6c, v31
	s_lshl_b64 s[14:15], s[6:7], 3
	v_add_nc_u32_e32 v29, 54, v31
	s_wait_alu 0xfffe
	s_add_nc_u64 s[14:15], s[8:9], s[14:15]
	v_add_nc_u32_e32 v37, 0xa2, v31
	s_wait_loadcnt 0x1
	v_add_nc_u32_e32 v20, 0xb4, v31
	v_mad_co_u64_u32 v[7:8], null, s5, v28, v[4:5]
	v_add_nc_u32_e32 v27, 36, v31
	v_add_nc_u32_e32 v30, 18, v31
	;; [unrolled: 1-line block ×5, first 2 shown]
	v_mov_b32_e32 v4, v7
	v_mad_co_u64_u32 v[12:13], null, s3, v31, v[6:7]
	s_wait_loadcnt 0x0
	v_add_nc_u32_e32 v15, 0x48, v31
	v_mad_co_u64_u32 v[8:9], null, s2, v27, 0
	v_lshlrev_b64_e32 v[3:4], 3, v[3:4]
	v_mad_co_u64_u32 v[13:14], null, s2, v17, 0
	v_mov_b32_e32 v6, v12
	v_mad_co_u64_u32 v[10:11], null, s2, v15, 0
	v_mov_b32_e32 v7, v9
	s_wait_alu 0xfffe
	v_add_co_u32 v39, vcc_lo, s14, v3
	v_lshlrev_b64_e32 v[5:6], 3, v[5:6]
	s_wait_alu 0xfffd
	v_add_co_ci_u32_e32 v40, vcc_lo, s15, v4, vcc_lo
	v_mov_b32_e32 v9, v11
	v_mad_co_u64_u32 v[18:19], null, s2, v30, 0
	s_delay_alu instid0(VALU_DEP_4) | instskip(NEXT) | instid1(VALU_DEP_3)
	v_add_co_u32 v3, vcc_lo, v39, v5
	v_mad_co_u64_u32 v[15:16], null, s3, v15, v[9:10]
	v_add_nc_u32_e32 v16, 0x90, v31
	v_mad_co_u64_u32 v[11:12], null, s3, v27, v[7:8]
	s_wait_alu 0xfffd
	v_add_co_ci_u32_e32 v4, vcc_lo, v40, v6, vcc_lo
	v_mov_b32_e32 v5, v14
	s_delay_alu instid0(VALU_DEP_3) | instskip(SKIP_1) | instid1(VALU_DEP_2)
	v_mov_b32_e32 v9, v11
	v_mov_b32_e32 v11, v15
	v_lshlrev_b64_e32 v[6:7], 3, v[8:9]
	s_delay_alu instid0(VALU_DEP_1) | instskip(NEXT) | instid1(VALU_DEP_3)
	v_mad_co_u64_u32 v[8:9], null, s3, v17, v[5:6]
	v_lshlrev_b64_e32 v[9:10], 3, v[10:11]
	v_mad_co_u64_u32 v[11:12], null, s2, v16, 0
	v_add_co_u32 v5, vcc_lo, v39, v6
	s_wait_alu 0xfffd
	v_add_co_ci_u32_e32 v6, vcc_lo, v40, v7, vcc_lo
	v_mov_b32_e32 v14, v8
	v_add_co_u32 v7, vcc_lo, v39, v9
	v_mov_b32_e32 v9, v12
	s_wait_alu 0xfffd
	v_add_co_ci_u32_e32 v8, vcc_lo, v40, v10, vcc_lo
	v_lshlrev_b64_e32 v[12:13], 3, v[13:14]
	v_mad_co_u64_u32 v[14:15], null, s2, v20, 0
	v_mad_co_u64_u32 v[9:10], null, s3, v16, v[9:10]
	s_delay_alu instid0(VALU_DEP_3) | instskip(SKIP_1) | instid1(VALU_DEP_4)
	v_add_co_u32 v16, vcc_lo, v39, v12
	s_wait_alu 0xfffd
	v_add_co_ci_u32_e32 v17, vcc_lo, v40, v13, vcc_lo
	s_delay_alu instid0(VALU_DEP_4) | instskip(NEXT) | instid1(VALU_DEP_4)
	v_dual_mov_b32 v10, v15 :: v_dual_mov_b32 v13, v19
	v_mov_b32_e32 v12, v9
	s_delay_alu instid0(VALU_DEP_2)
	v_mad_co_u64_u32 v[20:21], null, s3, v20, v[10:11]
	s_clause 0x3
	global_load_b64 v[3:4], v[3:4], off
	global_load_b64 v[5:6], v[5:6], off
	;; [unrolled: 1-line block ×4, first 2 shown]
	v_mad_co_u64_u32 v[16:17], null, s3, v30, v[13:14]
	v_lshlrev_b64_e32 v[11:12], 3, v[11:12]
	v_mov_b32_e32 v15, v20
	v_mad_co_u64_u32 v[20:21], null, s2, v29, 0
	s_delay_alu instid0(VALU_DEP_4) | instskip(SKIP_1) | instid1(VALU_DEP_4)
	v_mov_b32_e32 v19, v16
	v_mad_co_u64_u32 v[16:17], null, s2, v24, 0
	v_lshlrev_b64_e32 v[13:14], 3, v[14:15]
	v_add_co_u32 v11, vcc_lo, v39, v11
	v_mov_b32_e32 v15, v21
	s_wait_alu 0xfffd
	v_add_co_ci_u32_e32 v12, vcc_lo, v40, v12, vcc_lo
	s_delay_alu instid0(VALU_DEP_4) | instskip(NEXT) | instid1(VALU_DEP_3)
	v_add_co_u32 v13, vcc_lo, v39, v13
	v_mad_co_u64_u32 v[21:22], null, s3, v29, v[15:16]
	v_mad_co_u64_u32 v[22:23], null, s2, v32, 0
	v_mov_b32_e32 v15, v17
	v_lshlrev_b64_e32 v[17:18], 3, v[18:19]
	s_wait_alu 0xfffd
	v_add_co_ci_u32_e32 v14, vcc_lo, v40, v14, vcc_lo
	s_delay_alu instid0(VALU_DEP_3) | instskip(SKIP_3) | instid1(VALU_DEP_3)
	v_mad_co_u64_u32 v[24:25], null, s3, v24, v[15:16]
	v_mov_b32_e32 v15, v23
	v_mad_co_u64_u32 v[25:26], null, s2, v37, 0
	v_add_co_u32 v35, vcc_lo, v39, v17
	v_mad_co_u64_u32 v[32:33], null, s3, v32, v[15:16]
	v_mad_co_u64_u32 v[33:34], null, s2, v38, 0
	s_delay_alu instid0(VALU_DEP_4)
	v_mov_b32_e32 v15, v26
	v_mov_b32_e32 v17, v24
	s_wait_alu 0xfffd
	v_add_co_ci_u32_e32 v36, vcc_lo, v40, v18, vcc_lo
	v_lshlrev_b64_e32 v[18:19], 3, v[20:21]
	v_mad_co_u64_u32 v[20:21], null, s3, v37, v[15:16]
	v_lshlrev_b64_e32 v[16:17], 3, v[16:17]
	v_mov_b32_e32 v15, v34
	v_mov_b32_e32 v23, v32
	v_add_co_u32 v18, vcc_lo, v39, v18
	s_wait_alu 0xfffd
	v_add_co_ci_u32_e32 v19, vcc_lo, v40, v19, vcc_lo
	v_mad_co_u64_u32 v[37:38], null, s3, v38, v[15:16]
	v_mov_b32_e32 v26, v20
	v_lshlrev_b64_e32 v[21:22], 3, v[22:23]
	v_add_co_u32 v15, vcc_lo, v39, v16
	s_wait_alu 0xfffd
	v_add_co_ci_u32_e32 v16, vcc_lo, v40, v17, vcc_lo
	v_mov_b32_e32 v34, v37
	v_lshlrev_b64_e32 v[23:24], 3, v[25:26]
	v_add_co_u32 v37, vcc_lo, v39, v21
	s_wait_alu 0xfffd
	v_add_co_ci_u32_e32 v38, vcc_lo, v40, v22, vcc_lo
	v_lshlrev_b64_e32 v[20:21], 3, v[33:34]
	s_delay_alu instid0(VALU_DEP_4) | instskip(SKIP_2) | instid1(VALU_DEP_3)
	v_add_co_u32 v32, vcc_lo, v39, v23
	s_wait_alu 0xfffd
	v_add_co_ci_u32_e32 v33, vcc_lo, v40, v24, vcc_lo
	v_add_co_u32 v39, vcc_lo, v39, v20
	s_wait_alu 0xfffd
	v_add_co_ci_u32_e32 v40, vcc_lo, v40, v21, vcc_lo
	s_clause 0x7
	global_load_b64 v[25:26], v[11:12], off
	global_load_b64 v[23:24], v[13:14], off
	;; [unrolled: 1-line block ×8, first 2 shown]
.LBB0_10:
	s_wait_loadcnt 0x7
	v_dual_add_f32 v32, v9, v25 :: v_dual_add_f32 v35, v10, v26
	v_dual_add_f32 v33, v3, v9 :: v_dual_sub_f32 v34, v10, v26
	v_sub_f32_e32 v9, v9, v25
	s_delay_alu instid0(VALU_DEP_3) | instskip(NEXT) | instid1(VALU_DEP_3)
	v_dual_fmac_f32 v3, -0.5, v32 :: v_dual_add_f32 v10, v4, v10
	v_dual_add_f32 v25, v33, v25 :: v_dual_fmac_f32 v4, -0.5, v35
	s_wait_loadcnt 0x6
	s_delay_alu instid0(VALU_DEP_2) | instskip(NEXT) | instid1(VALU_DEP_3)
	v_dual_add_f32 v33, v24, v8 :: v_dual_fmamk_f32 v32, v34, 0xbf5db3d7, v3
	v_add_f32_e32 v10, v10, v26
	v_dual_fmac_f32 v3, 0x3f5db3d7, v34 :: v_dual_add_f32 v26, v23, v7
	v_dual_fmamk_f32 v35, v9, 0x3f5db3d7, v4 :: v_dual_add_f32 v34, v6, v8
	s_delay_alu instid0(VALU_DEP_4) | instskip(SKIP_1) | instid1(VALU_DEP_4)
	v_dual_fmac_f32 v6, -0.5, v33 :: v_dual_sub_f32 v33, v7, v23
	v_dual_add_f32 v7, v5, v7 :: v_dual_sub_f32 v8, v8, v24
	v_dual_fmac_f32 v5, -0.5, v26 :: v_dual_fmac_f32 v4, 0xbf5db3d7, v9
	s_delay_alu instid0(VALU_DEP_2) | instskip(NEXT) | instid1(VALU_DEP_2)
	v_dual_fmamk_f32 v9, v33, 0x3f5db3d7, v6 :: v_dual_add_f32 v26, v23, v7
	v_dual_fmac_f32 v6, 0xbf5db3d7, v33 :: v_dual_fmamk_f32 v7, v8, 0xbf5db3d7, v5
	v_fmac_f32_e32 v5, 0x3f5db3d7, v8
	s_delay_alu instid0(VALU_DEP_3) | instskip(SKIP_1) | instid1(VALU_DEP_4)
	v_mul_f32_e32 v33, 0xbf5db3d7, v9
	v_cmp_gt_u64_e32 vcc_lo, s[12:13], v[1:2]
	v_mul_f32_e32 v36, 0xbf5db3d7, v6
	v_dual_mul_f32 v38, 0x3f5db3d7, v7 :: v_dual_add_f32 v37, v24, v34
	v_mul_f32_e32 v39, -0.5, v6
	v_dual_fmac_f32 v33, 0.5, v7 :: v_dual_add_f32 v6, v25, v26
	s_delay_alu instid0(VALU_DEP_4) | instskip(NEXT) | instid1(VALU_DEP_4)
	v_fmac_f32_e32 v36, -0.5, v5
	v_fmac_f32_e32 v38, 0.5, v9
	s_delay_alu instid0(VALU_DEP_4) | instskip(NEXT) | instid1(VALU_DEP_4)
	v_fmac_f32_e32 v39, 0x3f5db3d7, v5
	v_add_f32_e32 v8, v32, v33
	s_wait_loadcnt 0x3
	v_add_f32_e32 v5, v11, v21
	v_add_f32_e32 v23, v3, v36
	s_wait_loadcnt 0x1
	v_dual_sub_f32 v34, v3, v36 :: v_dual_add_f32 v3, v21, v19
	v_dual_add_f32 v7, v10, v37 :: v_dual_add_f32 v24, v4, v39
	v_dual_add_f32 v9, v35, v38 :: v_dual_sub_f32 v32, v32, v33
	v_dual_sub_f32 v25, v25, v26 :: v_dual_sub_f32 v26, v10, v37
	v_dual_sub_f32 v33, v35, v38 :: v_dual_add_f32 v10, v5, v19
	v_add_f32_e32 v5, v12, v22
	v_dual_sub_f32 v35, v4, v39 :: v_dual_add_f32 v4, v22, v20
	v_fmac_f32_e32 v11, -0.5, v3
	v_sub_f32_e32 v3, v22, v20
	v_add_f32_e32 v22, v18, v14
	v_mul_lo_u16 v39, v31, 43
	v_fmac_f32_e32 v12, -0.5, v4
	s_delay_alu instid0(VALU_DEP_4) | instskip(SKIP_4) | instid1(VALU_DEP_1)
	v_dual_sub_f32 v4, v21, v19 :: v_dual_fmamk_f32 v19, v3, 0xbf5db3d7, v11
	v_fmac_f32_e32 v11, 0x3f5db3d7, v3
	s_wait_loadcnt 0x0
	v_dual_add_f32 v3, v18, v16 :: v_dual_add_f32 v22, v16, v22
	s_or_b32 s12, s16, vcc_lo
	v_fmac_f32_e32 v14, -0.5, v3
	v_add_f32_e32 v20, v5, v20
	v_add_f32_e32 v5, v17, v15
	v_sub_f32_e32 v3, v17, v15
	v_add_f32_e32 v17, v17, v13
	s_delay_alu instid0(VALU_DEP_3) | instskip(NEXT) | instid1(VALU_DEP_3)
	v_fmac_f32_e32 v13, -0.5, v5
	v_dual_sub_f32 v5, v18, v16 :: v_dual_fmamk_f32 v18, v3, 0x3f5db3d7, v14
	v_fmac_f32_e32 v14, 0xbf5db3d7, v3
	v_fmamk_f32 v21, v4, 0x3f5db3d7, v12
	v_fmac_f32_e32 v12, 0xbf5db3d7, v4
	s_delay_alu instid0(VALU_DEP_4) | instskip(NEXT) | instid1(VALU_DEP_4)
	v_dual_fmamk_f32 v4, v5, 0xbf5db3d7, v13 :: v_dual_add_f32 v3, v15, v17
	v_mul_f32_e32 v38, -0.5, v14
	v_mul_f32_e32 v36, 0xbf5db3d7, v14
	s_delay_alu instid0(VALU_DEP_3) | instskip(NEXT) | instid1(VALU_DEP_1)
	v_mul_f32_e32 v37, 0x3f5db3d7, v4
	v_fmac_f32_e32 v37, 0.5, v18
	v_mul_f32_e32 v17, 0xbf5db3d7, v18
	v_mul_u32_u24_e32 v18, 0x2a0, v31
	s_delay_alu instid0(VALU_DEP_2) | instskip(SKIP_1) | instid1(VALU_DEP_1)
	v_dual_add_f32 v14, v21, v37 :: v_dual_fmac_f32 v17, 0.5, v4
	v_dual_add_f32 v4, v10, v3 :: v_dual_fmac_f32 v13, 0x3f5db3d7, v5
	v_dual_add_f32 v5, v20, v22 :: v_dual_fmac_f32 v38, 0x3f5db3d7, v13
	s_delay_alu instid0(VALU_DEP_1) | instskip(SKIP_4) | instid1(VALU_DEP_3)
	v_add_f32_e32 v16, v12, v38
	v_sub_f32_e32 v10, v10, v3
	v_dual_fmac_f32 v36, -0.5, v13 :: v_dual_lshlrev_b32 v3, 3, v28
	v_add_f32_e32 v13, v19, v17
	v_sub_f32_e32 v17, v19, v17
	v_add_f32_e32 v15, v11, v36
	v_sub_f32_e32 v19, v11, v36
	v_sub_f32_e32 v11, v20, v22
	v_add3_u32 v36, 0, v18, v3
	v_sub_f32_e32 v20, v12, v38
	v_and_b32_e32 v12, 0xff, v30
	v_sub_f32_e32 v18, v21, v37
	v_lshrrev_b16 v37, 8, v39
	ds_store_2addr_b64 v36, v[6:7], v[8:9] offset1:14
	v_mul_i32_i24_e32 v6, 0x2a0, v30
	v_mul_lo_u16 v8, 0xab, v12
	ds_store_2addr_b64 v36, v[23:24], v[25:26] offset0:28 offset1:42
	v_mul_lo_u16 v7, v37, 6
	v_and_b32_e32 v9, 0xff, v27
	v_add3_u32 v6, 0, v6, v3
	v_lshrrev_b16 v26, 10, v8
	ds_store_2addr_b64 v36, v[32:33], v[34:35] offset0:56 offset1:70
	v_sub_nc_u16 v7, v31, v7
	v_mul_lo_u16 v9, 0xab, v9
	ds_store_2addr_b64 v6, v[4:5], v[13:14] offset1:14
	v_mul_lo_u16 v4, v26, 6
	ds_store_2addr_b64 v6, v[15:16], v[10:11] offset0:28 offset1:42
	v_and_b32_e32 v32, 0xff, v7
	v_lshrrev_b16 v33, 10, v9
	v_and_b32_e32 v34, 0xffff, v37
	v_sub_nc_u16 v4, v30, v4
	v_mul_lo_u16 v10, v31, 11
	v_mul_u32_u24_e32 v5, 3, v32
	v_mul_lo_u16 v7, v33, 6
	v_lshrrev_b16 v61, 12, v8
	v_and_b32_e32 v56, 0xff, v4
	v_lshrrev_b16 v60, 8, v10
	v_lshlrev_b32_e32 v5, 3, v5
	v_sub_nc_u16 v4, v27, v7
	v_lshrrev_b16 v62, 12, v9
	v_mul_u32_u24_e32 v7, 3, v56
	v_mul_lo_u16 v35, v60, 24
	v_mul_u32_u24_e32 v34, 24, v34
	v_and_b32_e32 v57, 0xff, v4
	v_mul_lo_u16 v37, v62, 24
	v_lshlrev_b32_e32 v4, 3, v7
	ds_store_2addr_b64 v6, v[17:18], v[19:20] offset0:56 offset1:70
	global_wb scope:SCOPE_SE
	s_wait_dscnt 0x0
	s_barrier_signal -1
	s_barrier_wait -1
	global_inv scope:SCOPE_SE
	s_clause 0x2
	global_load_b128 v[12:15], v5, s[10:11]
	global_load_b128 v[16:19], v4, s[10:11]
	global_load_b64 v[24:25], v5, s[10:11] offset:16
	v_mul_u32_u24_e32 v5, 3, v57
	v_and_b32_e32 v11, 0xff, v29
	v_sub_nc_u16 v35, v31, v35
	v_or_b32_e32 v59, v34, v32
	v_mad_i32_i24 v6, 0xfffffdd0, v30, v6
	v_lshlrev_b32_e32 v5, 3, v5
	s_clause 0x2
	global_load_b64 v[48:49], v4, s[10:11] offset:16
	global_load_b128 v[20:23], v5, s[10:11]
	global_load_b64 v[50:51], v5, s[10:11] offset:16
	v_mul_i32_i24_e32 v4, 0x70, v29
	v_mul_lo_u16 v10, 0xab, v11
	v_and_b32_e32 v33, 0xffff, v33
	v_and_b32_e32 v64, 0xff, v35
	v_sub_nc_u16 v35, v27, v37
	v_add3_u32 v7, 0, v4, v3
	v_mad_i32_i24 v4, 0xfffffdd0, v31, v36
	v_lshrrev_b16 v63, 12, v10
	v_mul_lo_u16 v36, v61, 24
	v_mul_u32_u24_e32 v58, 24, v33
	v_and_b32_e32 v68, 0xff, v35
	v_add_nc_u32_e32 v11, 0x2f40, v4
	v_mul_lo_u16 v38, v63, 24
	v_sub_nc_u16 v33, v30, v36
	v_add_nc_u32_e32 v8, 0x3f00, v4
	v_add_nc_u32_e32 v9, 0x1f80, v4
	;; [unrolled: 1-line block ×3, first 2 shown]
	v_sub_nc_u16 v65, v29, v38
	v_and_b32_e32 v67, 0xff, v33
	ds_load_b64 v[52:53], v4
	ds_load_b64 v[54:55], v7
	ds_load_2addr_b64 v[32:35], v11 offset1:252
	ds_load_2addr_b64 v[36:39], v8 offset1:252
	;; [unrolled: 1-line block ×4, first 2 shown]
	v_and_b32_e32 v26, 0xffff, v26
	v_mul_i32_i24_e32 v5, 0x70, v27
	v_mul_u32_u24_e32 v69, 0x70, v59
	s_wait_loadcnt_dscnt 0x503
	v_mul_f32_e32 v73, v15, v33
	v_mul_u32_u24_e32 v26, 24, v26
	s_wait_loadcnt_dscnt 0x302
	v_mul_f32_e32 v74, v25, v39
	v_mul_f32_e32 v72, v13, v55
	v_add3_u32 v5, 0, v5, v3
	v_mul_f32_e32 v13, v13, v54
	v_or_b32_e32 v26, v26, v56
	v_fmac_f32_e32 v74, v24, v38
	v_or_b32_e32 v70, v58, v57
	ds_load_b64 v[56:57], v6
	ds_load_b64 v[58:59], v5
	v_mul_f32_e32 v15, v15, v32
	v_dual_mul_f32 v25, v25, v38 :: v_dual_lshlrev_b32 v66, 4, v64
	s_wait_loadcnt 0x1
	v_mul_f32_e32 v38, v37, v23
	v_fmac_f32_e32 v72, v12, v54
	v_fma_f32 v12, v12, v55, -v13
	v_fmac_f32_e32 v73, v14, v32
	v_fma_f32 v13, v14, v33, -v15
	v_fma_f32 v14, v24, v39, -v25
	s_wait_dscnt 0x3
	v_mul_f32_e32 v24, v17, v41
	v_dual_mul_f32 v15, v17, v40 :: v_dual_fmac_f32 v38, v36, v22
	v_mul_f32_e32 v17, v35, v19
	v_mul_f32_e32 v19, v34, v19
	;; [unrolled: 1-line block ×3, first 2 shown]
	v_fmac_f32_e32 v24, v16, v40
	s_wait_dscnt 0x2
	v_mul_f32_e32 v32, v44, v49
	v_sub_f32_e32 v14, v12, v14
	v_mul_u32_u24_e32 v26, 0x70, v26
	s_wait_dscnt 0x0
	v_sub_f32_e32 v38, v58, v38
	v_fmac_f32_e32 v17, v34, v18
	v_mul_f32_e32 v33, v43, v21
	v_mul_u32_u24_e32 v70, 0x70, v70
	v_add3_u32 v69, 0, v69, v3
	v_add3_u32 v26, 0, v26, v3
	v_sub_f32_e32 v36, v56, v17
	v_fma_f32 v40, v16, v41, -v15
	v_fma_f32 v15, v35, v18, -v19
	v_sub_f32_e32 v19, v52, v73
	v_fma_f32 v18, v37, v22, -v23
	v_fmac_f32_e32 v33, v42, v20
	v_fma_f32 v16, v45, v48, -v32
	v_sub_f32_e32 v37, v57, v15
	v_fma_f32 v23, v52, 2.0, -v19
	v_dual_mul_f32 v21, v42, v21 :: v_dual_sub_f32 v42, v59, v18
	s_delay_alu instid0(VALU_DEP_4)
	v_sub_f32_e32 v41, v40, v16
	s_wait_loadcnt 0x0
	v_mul_f32_e32 v39, v47, v51
	v_fma_f32 v35, v12, 2.0, -v14
	v_fma_f32 v20, v43, v20, -v21
	v_mul_f32_e32 v25, v45, v49
	v_mul_f32_e32 v49, v46, v51
	v_sub_f32_e32 v21, v53, v13
	v_sub_f32_e32 v13, v72, v74
	v_dual_add_f32 v18, v36, v41 :: v_dual_fmac_f32 v39, v46, v50
	s_delay_alu instid0(VALU_DEP_4) | instskip(NEXT) | instid1(VALU_DEP_4)
	v_fma_f32 v22, v47, v50, -v49
	v_fma_f32 v32, v53, 2.0, -v21
	s_delay_alu instid0(VALU_DEP_4) | instskip(SKIP_1) | instid1(VALU_DEP_4)
	v_fma_f32 v34, v72, 2.0, -v13
	v_dual_add_f32 v12, v19, v14 :: v_dual_lshlrev_b32 v71, 4, v67
	v_sub_f32_e32 v22, v20, v22
	v_fmac_f32_e32 v25, v44, v48
	s_delay_alu instid0(VALU_DEP_4) | instskip(SKIP_2) | instid1(VALU_DEP_4)
	v_dual_sub_f32 v39, v33, v39 :: v_dual_sub_f32 v14, v23, v34
	v_fma_f32 v43, v56, 2.0, -v36
	v_fma_f32 v44, v57, 2.0, -v37
	v_sub_f32_e32 v25, v24, v25
	v_fma_f32 v34, v40, 2.0, -v41
	v_sub_f32_e32 v13, v21, v13
	v_sub_f32_e32 v15, v32, v35
	v_fma_f32 v40, v58, 2.0, -v38
	v_fma_f32 v24, v24, 2.0, -v25
	;; [unrolled: 1-line block ×6, first 2 shown]
	v_dual_sub_f32 v19, v37, v25 :: v_dual_add_f32 v20, v38, v22
	v_dual_sub_f32 v24, v43, v24 :: v_dual_sub_f32 v25, v44, v34
	v_fma_f32 v17, v21, 2.0, -v13
	v_sub_f32_e32 v21, v42, v39
	v_dual_sub_f32 v34, v40, v35 :: v_dual_sub_f32 v35, v41, v45
	v_fma_f32 v22, v23, 2.0, -v14
	v_fma_f32 v23, v32, 2.0, -v15
	;; [unrolled: 1-line block ×7, first 2 shown]
	v_add3_u32 v70, 0, v70, v3
	v_fma_f32 v37, v42, 2.0, -v21
	v_fma_f32 v40, v40, 2.0, -v34
	;; [unrolled: 1-line block ×3, first 2 shown]
	global_wb scope:SCOPE_SE
	s_barrier_signal -1
	s_barrier_wait -1
	global_inv scope:SCOPE_SE
	ds_store_2addr_b64 v69, v[14:15], v[12:13] offset0:168 offset1:252
	ds_store_2addr_b64 v69, v[22:23], v[16:17] offset1:84
	ds_store_2addr_b64 v26, v[24:25], v[18:19] offset0:168 offset1:252
	ds_store_2addr_b64 v26, v[38:39], v[32:33] offset1:84
	ds_store_2addr_b64 v70, v[40:41], v[36:37] offset1:84
	ds_store_2addr_b64 v70, v[34:35], v[20:21] offset0:168 offset1:252
	global_wb scope:SCOPE_SE
	s_wait_dscnt 0x0
	s_barrier_signal -1
	s_barrier_wait -1
	global_inv scope:SCOPE_SE
	s_clause 0x1
	global_load_b128 v[12:15], v66, s[10:11] offset:144
	global_load_b128 v[16:19], v71, s[10:11] offset:144
	v_and_b32_e32 v24, 0xff, v65
	v_lshlrev_b32_e32 v20, 4, v68
	v_and_b32_e32 v26, 0xffff, v61
	v_and_b32_e32 v36, 0xffff, v62
	v_and_b32_e32 v37, 0xffff, v63
	v_lshlrev_b32_e32 v25, 4, v24
	s_clause 0x1
	global_load_b128 v[20:23], v20, s[10:11] offset:144
	global_load_b128 v[32:35], v25, s[10:11] offset:144
	v_mad_u32_u24 v2, 0x48, v26, v67
	v_mad_u32_u24 v26, 0x48, v36, v68
	;; [unrolled: 1-line block ×3, first 2 shown]
	ds_load_2addr_b64 v[36:39], v9 offset1:252
	ds_load_2addr_b64 v[40:43], v8 offset1:252
	;; [unrolled: 1-line block ×4, first 2 shown]
	v_mul_u32_u24_e32 v2, 0x70, v2
	v_mul_u32_u24_e32 v26, 0x70, v26
	;; [unrolled: 1-line block ×3, first 2 shown]
	s_delay_alu instid0(VALU_DEP_3) | instskip(NEXT) | instid1(VALU_DEP_3)
	v_add3_u32 v57, 0, v2, v3
	v_add3_u32 v26, 0, v26, v3
	s_delay_alu instid0(VALU_DEP_3) | instskip(SKIP_3) | instid1(VALU_DEP_1)
	v_add3_u32 v58, 0, v24, v3
	s_wait_loadcnt_dscnt 0x203
	v_mul_f32_e32 v61, v17, v39
	s_wait_dscnt 0x2
	v_dual_mul_f32 v62, v19, v43 :: v_dual_fmac_f32 v61, v16, v38
	s_delay_alu instid0(VALU_DEP_1)
	v_dual_fmac_f32 v62, v18, v42 :: v_dual_and_b32 v25, 0xffff, v60
	v_mul_f32_e32 v60, v15, v41
	s_wait_loadcnt_dscnt 0x101
	v_mul_f32_e32 v63, v21, v45
	v_mul_f32_e32 v15, v15, v40
	v_mad_u32_u24 v25, 0x48, v25, v64
	s_wait_dscnt 0x0
	v_mul_f32_e32 v64, v49, v23
	s_wait_loadcnt 0x0
	v_dual_mul_f32 v66, v51, v35 :: v_dual_fmac_f32 v63, v20, v44
	v_mul_f32_e32 v35, v50, v35
	v_mul_u32_u24_e32 v25, 0x70, v25
	v_fmac_f32_e32 v60, v14, v40
	v_dual_fmac_f32 v64, v48, v22 :: v_dual_mul_f32 v65, v47, v33
	v_fmac_f32_e32 v66, v50, v34
	s_delay_alu instid0(VALU_DEP_4)
	v_add3_u32 v56, 0, v25, v3
	ds_load_b64 v[2:3], v4
	ds_load_b64 v[24:25], v5
	;; [unrolled: 1-line block ×4, first 2 shown]
	v_mul_f32_e32 v59, v13, v37
	v_mul_f32_e32 v13, v13, v36
	;; [unrolled: 1-line block ×3, first 2 shown]
	global_wb scope:SCOPE_SE
	s_wait_dscnt 0x0
	s_barrier_signal -1
	s_barrier_wait -1
	global_inv scope:SCOPE_SE
	v_dual_add_f32 v40, v24, v63 :: v_dual_mul_f32 v19, v19, v42
	v_fmac_f32_e32 v59, v12, v36
	v_fma_f32 v12, v12, v37, -v13
	v_fma_f32 v13, v14, v41, -v15
	v_add_f32_e32 v41, v63, v64
	v_fma_f32 v15, v18, v43, -v19
	v_fma_f32 v19, v51, v34, -v35
	v_dual_add_f32 v35, v61, v62 :: v_dual_add_f32 v34, v52, v61
	s_delay_alu instid0(VALU_DEP_4) | instskip(NEXT) | instid1(VALU_DEP_2)
	v_fma_f32 v24, -0.5, v41, v24
	v_fma_f32 v52, -0.5, v35, v52
	v_mul_f32_e32 v33, v46, v33
	s_delay_alu instid0(VALU_DEP_1) | instskip(NEXT) | instid1(VALU_DEP_1)
	v_fma_f32 v18, v47, v32, -v33
	v_dual_mul_f32 v17, v17, v38 :: v_dual_add_f32 v50, v18, v19
	v_sub_f32_e32 v48, v18, v19
	v_fmac_f32_e32 v65, v46, v32
	s_delay_alu instid0(VALU_DEP_3) | instskip(SKIP_2) | instid1(VALU_DEP_4)
	v_fma_f32 v14, v16, v39, -v17
	v_fma_f32 v17, v49, v22, -v23
	v_dual_add_f32 v49, v55, v18 :: v_dual_add_f32 v32, v12, v13
	v_dual_add_f32 v46, v54, v65 :: v_dual_mul_f32 v21, v21, v44
	v_add_f32_e32 v47, v65, v66
	v_add_f32_e32 v23, v3, v12
	s_delay_alu instid0(VALU_DEP_3) | instskip(NEXT) | instid1(VALU_DEP_4)
	v_dual_fmac_f32 v3, -0.5, v32 :: v_dual_add_f32 v18, v46, v66
	v_fma_f32 v16, v20, v45, -v21
	v_add_f32_e32 v38, v14, v15
	v_fma_f32 v54, -0.5, v47, v54
	v_dual_sub_f32 v22, v12, v13 :: v_dual_add_f32 v37, v53, v14
	s_delay_alu instid0(VALU_DEP_4) | instskip(SKIP_3) | instid1(VALU_DEP_4)
	v_sub_f32_e32 v42, v16, v17
	v_add_f32_e32 v44, v16, v17
	v_sub_f32_e32 v36, v14, v15
	v_add_f32_e32 v14, v34, v62
	v_dual_fmac_f32 v53, -0.5, v38 :: v_dual_fmamk_f32 v32, v42, 0xbf5db3d7, v24
	v_dual_add_f32 v21, v59, v60 :: v_dual_add_f32 v20, v2, v59
	v_dual_sub_f32 v33, v59, v60 :: v_dual_fmamk_f32 v34, v48, 0xbf5db3d7, v54
	v_fmac_f32_e32 v54, 0x3f5db3d7, v48
	s_delay_alu instid0(VALU_DEP_3)
	v_fma_f32 v2, -0.5, v21, v2
	v_sub_f32_e32 v39, v61, v62
	v_add_f32_e32 v43, v25, v16
	v_dual_sub_f32 v51, v65, v66 :: v_dual_add_f32 v12, v20, v60
	v_add_f32_e32 v13, v23, v13
	v_fmac_f32_e32 v25, -0.5, v44
	v_fmac_f32_e32 v55, -0.5, v50
	v_dual_fmac_f32 v24, 0x3f5db3d7, v42 :: v_dual_sub_f32 v45, v63, v64
	v_fmamk_f32 v20, v22, 0xbf5db3d7, v2
	v_dual_fmamk_f32 v21, v33, 0x3f5db3d7, v3 :: v_dual_fmac_f32 v2, 0x3f5db3d7, v22
	v_fmac_f32_e32 v3, 0xbf5db3d7, v33
	v_dual_add_f32 v15, v37, v15 :: v_dual_fmamk_f32 v22, v36, 0xbf5db3d7, v52
	v_dual_fmamk_f32 v23, v39, 0x3f5db3d7, v53 :: v_dual_add_f32 v16, v40, v64
	v_add_f32_e32 v17, v43, v17
	v_dual_add_f32 v19, v49, v19 :: v_dual_fmac_f32 v52, 0x3f5db3d7, v36
	v_fmac_f32_e32 v53, 0xbf5db3d7, v39
	v_fmamk_f32 v33, v45, 0x3f5db3d7, v25
	v_fmac_f32_e32 v25, 0xbf5db3d7, v45
	v_fmamk_f32 v35, v51, 0x3f5db3d7, v55
	v_fmac_f32_e32 v55, 0xbf5db3d7, v51
	ds_store_b64 v56, v[12:13]
	ds_store_b64 v56, v[20:21] offset:2688
	ds_store_b64 v56, v[2:3] offset:5376
	ds_store_b64 v57, v[14:15]
	ds_store_b64 v57, v[22:23] offset:2688
	ds_store_b64 v57, v[52:53] offset:5376
	;; [unrolled: 3-line block ×4, first 2 shown]
	global_wb scope:SCOPE_SE
	s_wait_dscnt 0x0
	s_barrier_signal -1
	s_barrier_wait -1
	global_inv scope:SCOPE_SE
	s_wait_alu 0xfffe
	s_and_saveexec_b32 s13, s12
	s_cbranch_execz .LBB0_12
; %bb.11:
	v_subrev_nc_u32_e32 v2, 18, v31
	v_cmp_gt_u32_e32 vcc_lo, 0xfc, v0
	v_subrev_nc_u32_e32 v12, 36, v31
	s_load_b64 s[0:1], s[0:1], 0x8
	s_delay_alu instid0(VALU_DEP_3) | instskip(SKIP_1) | instid1(VALU_DEP_2)
	v_dual_mov_b32 v3, 0 :: v_dual_cndmask_b32 v20, v2, v29
	v_cmp_gt_u32_e32 vcc_lo, 0x1f8, v0
	v_lshlrev_b32_e32 v2, 1, v20
	s_wait_alu 0xfffd
	v_cndmask_b32_e32 v26, v12, v27, vcc_lo
	v_mul_lo_u32 v78, v1, v20
	s_delay_alu instid0(VALU_DEP_3) | instskip(NEXT) | instid1(VALU_DEP_1)
	v_lshlrev_b64_e32 v[12:13], 3, v[2:3]
	v_add_co_u32 v12, vcc_lo, s10, v12
	s_wait_alu 0xfffd
	s_delay_alu instid0(VALU_DEP_2) | instskip(SKIP_2) | instid1(VALU_DEP_1)
	v_add_co_ci_u32_e32 v13, vcc_lo, s11, v13, vcc_lo
	global_load_b128 v[12:15], v[12:13], off offset:528
	v_lshlrev_b32_e32 v2, 1, v26
	v_lshlrev_b64_e32 v[16:17], 3, v[2:3]
	s_delay_alu instid0(VALU_DEP_1) | instskip(SKIP_1) | instid1(VALU_DEP_2)
	v_add_co_u32 v16, vcc_lo, s10, v16
	s_wait_alu 0xfffd
	v_add_co_ci_u32_e32 v17, vcc_lo, s11, v17, vcc_lo
	v_cmp_gt_u32_e32 vcc_lo, 0x2f4, v0
	global_load_b128 v[16:19], v[16:17], off offset:528
	v_add_nc_u32_e32 v2, 0x90, v20
	v_and_b32_e32 v23, 0xff, v78
	s_delay_alu instid0(VALU_DEP_2) | instskip(SKIP_1) | instid1(VALU_DEP_1)
	v_mul_lo_u32 v76, v1, v2
	v_add_nc_u32_e32 v2, 0x48, v20
	v_mul_lo_u32 v77, v1, v2
	s_delay_alu instid0(VALU_DEP_3) | instskip(SKIP_1) | instid1(VALU_DEP_2)
	v_and_b32_e32 v2, 0xff, v76
	v_lshrrev_b32_e32 v21, 5, v76
	v_lshlrev_b32_e32 v2, 3, v2
	s_delay_alu instid0(VALU_DEP_2)
	v_and_b32_e32 v21, 0x7f8, v21
	s_wait_kmcnt 0x0
	s_clause 0x1
	global_load_b64 v[24:25], v2, s[0:1]
	global_load_b64 v[36:37], v21, s[0:1] offset:2048
	v_add_nc_u32_e32 v21, 0x90, v26
	v_lshrrev_b32_e32 v2, 5, v77
	s_delay_alu instid0(VALU_DEP_2) | instskip(SKIP_2) | instid1(VALU_DEP_3)
	v_mul_lo_u32 v79, v1, v21
	v_lshrrev_b32_e32 v21, 5, v78
	s_wait_loadcnt 0x0
	v_dual_mul_f32 v97, v24, v37 :: v_dual_and_b32 v2, 0x7f8, v2
	s_delay_alu instid0(VALU_DEP_1) | instskip(NEXT) | instid1(VALU_DEP_1)
	v_dual_fmac_f32 v97, v25, v36 :: v_dual_and_b32 v20, 0xff, v77
	v_lshlrev_b32_e32 v20, 3, v20
	s_clause 0x1
	global_load_b64 v[38:39], v20, s[0:1]
	global_load_b64 v[40:41], v2, s[0:1] offset:2048
	v_add_nc_u32_e32 v22, 0x48, v26
	v_and_b32_e32 v2, 0x7f8, v21
	v_lshlrev_b32_e32 v20, 3, v23
	v_and_b32_e32 v21, 0xff, v79
	s_clause 0x1
	global_load_b64 v[42:43], v2, s[0:1] offset:2048
	global_load_b64 v[44:45], v20, s[0:1]
	v_mul_lo_u32 v82, v1, v22
	v_lshrrev_b32_e32 v2, 5, v79
	v_lshlrev_b32_e32 v20, 3, v21
	v_mul_lo_u32 v26, v1, v26
	s_delay_alu instid0(VALU_DEP_3)
	v_and_b32_e32 v2, 0x7f8, v2
	s_clause 0x1
	global_load_b64 v[46:47], v20, s[0:1]
	global_load_b64 v[48:49], v2, s[0:1] offset:2048
	v_and_b32_e32 v21, 0xff, v82
	v_lshrrev_b32_e32 v2, 5, v82
	s_delay_alu instid0(VALU_DEP_2) | instskip(NEXT) | instid1(VALU_DEP_2)
	v_lshlrev_b32_e32 v20, 3, v21
	v_and_b32_e32 v2, 0x7f8, v2
	s_clause 0x1
	global_load_b64 v[50:51], v20, s[0:1]
	global_load_b64 v[52:53], v2, s[0:1] offset:2048
	ds_load_2addr_b64 v[20:23], v11 offset1:252
	ds_load_2addr_b64 v[32:35], v10 offset1:252
	v_subrev_nc_u32_e32 v2, 54, v31
	s_wait_alu 0xfffd
	s_delay_alu instid0(VALU_DEP_1) | instskip(SKIP_1) | instid1(VALU_DEP_2)
	v_dual_cndmask_b32 v2, v2, v30 :: v_dual_add_nc_u32 v11, 0xffffffb8, v31
	v_cmp_gt_u32_e32 vcc_lo, 0x3f0, v0
	v_mul_lo_u32 v84, v1, v2
	v_add_nc_u32_e32 v10, 0x90, v2
	s_delay_alu instid0(VALU_DEP_1)
	v_mul_lo_u32 v86, v1, v10
	v_lshrrev_b32_e32 v10, 5, v26
	s_wait_dscnt 0x1
	s_wait_alu 0xfffd
	v_dual_mul_f32 v94, v17, v21 :: v_dual_cndmask_b32 v83, v11, v31
	s_wait_dscnt 0x0
	v_dual_mul_f32 v96, v33, v19 :: v_dual_add_nc_u32 v11, 0x48, v2
	v_and_b32_e32 v10, 0x7f8, v10
	s_delay_alu instid0(VALU_DEP_3) | instskip(NEXT) | instid1(VALU_DEP_3)
	v_dual_fmac_f32 v94, v16, v20 :: v_dual_add_nc_u32 v31, 0x90, v83
	v_mul_lo_u32 v87, v1, v11
	s_delay_alu instid0(VALU_DEP_4) | instskip(SKIP_1) | instid1(VALU_DEP_4)
	v_dual_fmac_f32 v96, v32, v18 :: v_dual_and_b32 v11, 0xff, v84
	v_add_nc_u32_e32 v54, 0x48, v83
	v_mul_lo_u32 v88, v1, v31
	v_lshrrev_b32_e32 v31, 5, v84
	v_mul_lo_u32 v85, v1, v83
	v_and_b32_e32 v57, 0xff, v86
	v_mul_lo_u32 v89, v1, v54
	v_and_b32_e32 v1, 0xff, v26
	v_lshrrev_b32_e32 v58, 5, v86
	v_and_b32_e32 v59, 0xff, v87
	v_and_b32_e32 v31, 0x7f8, v31
	v_lshrrev_b32_e32 v60, 5, v87
	v_and_b32_e32 v61, 0xff, v88
	v_lshrrev_b32_e32 v62, 5, v88
	;; [unrolled: 2-line block ×3, first 2 shown]
	global_load_b64 v[54:55], v10, s[0:1] offset:2048
	v_and_b32_e32 v65, 0x7f8, v58
	v_lshlrev_b32_e32 v66, 3, v59
	global_load_b64 v[58:59], v31, s[0:1] offset:2048
	v_lshlrev_b32_e32 v56, 3, v1
	v_lshlrev_b32_e32 v10, 3, v57
	v_and_b32_e32 v67, 0x7f8, v60
	v_lshlrev_b32_e32 v31, 3, v61
	v_and_b32_e32 v72, 0x7f8, v62
	global_load_b64 v[56:57], v56, s[0:1]
	v_lshlrev_b32_e32 v74, 3, v63
	s_clause 0x1
	global_load_b64 v[60:61], v10, s[0:1]
	global_load_b64 v[62:63], v65, s[0:1] offset:2048
	v_and_b32_e32 v10, 0x7f8, v64
	s_clause 0x1
	global_load_b64 v[64:65], v66, s[0:1]
	global_load_b64 v[66:67], v67, s[0:1] offset:2048
	v_lshlrev_b32_e32 v11, 3, v11
	v_dual_mul_f32 v75, v34, v15 :: v_dual_mul_f32 v90, v23, v13
	v_mul_f32_e32 v91, v35, v15
	v_lshrrev_b32_e32 v81, 5, v85
	global_load_b64 v[68:69], v11, s[0:1]
	v_dual_mul_f32 v11, v22, v13 :: v_dual_lshlrev_b32 v2, 1, v2
	v_fma_f32 v93, v35, v14, -v75
	v_fmac_f32_e32 v90, v22, v12
	v_fmac_f32_e32 v91, v34, v14
	s_delay_alu instid0(VALU_DEP_4)
	v_lshlrev_b64_e32 v[1:2], 3, v[2:3]
	v_fma_f32 v92, v23, v12, -v11
	v_and_b32_e32 v80, 0xff, v85
	v_lshrrev_b32_e32 v14, 13, v76
	v_lshrrev_b32_e32 v15, 13, v77
	v_add_co_u32 v1, vcc_lo, s10, v1
	s_wait_alu 0xfffd
	v_add_co_ci_u32_e32 v2, vcc_lo, s11, v2, vcc_lo
	s_wait_loadcnt 0x1
	v_mul_f32_e32 v22, v65, v67
	s_clause 0x3
	global_load_b64 v[70:71], v31, s[0:1]
	global_load_b64 v[72:73], v72, s[0:1] offset:2048
	global_load_b64 v[34:35], v74, s[0:1]
	global_load_b64 v[74:75], v10, s[0:1] offset:2048
	v_mul_f32_e32 v10, v17, v20
	v_lshlrev_b32_e32 v17, 3, v80
	v_dual_mul_f32 v20, v25, v37 :: v_dual_and_b32 v15, 0x7f8, v15
	s_delay_alu instid0(VALU_DEP_3)
	v_fma_f32 v95, v16, v21, -v10
	global_load_b128 v[10:13], v[1:2], off offset:528
	v_lshlrev_b32_e32 v2, 1, v83
	v_dual_mul_f32 v16, v32, v19 :: v_dual_and_b32 v19, 0x7f8, v81
	s_clause 0x1
	global_load_b64 v[31:32], v19, s[0:1] offset:2048
	global_load_b64 v[76:77], v17, s[0:1]
	v_lshlrev_b64_e32 v[1:2], 3, v[2:3]
	v_fma_f32 v33, v33, v18, -v16
	v_lshrrev_b32_e32 v3, 13, v78
	v_lshrrev_b32_e32 v18, 13, v79
	v_and_b32_e32 v19, 0x7f8, v14
	v_fma_f32 v98, v24, v36, -v20
	v_add_co_u32 v1, vcc_lo, s10, v1
	v_and_b32_e32 v3, 0x7f8, v3
	v_and_b32_e32 v18, 0x7f8, v18
	s_wait_alu 0xfffd
	v_add_co_ci_u32_e32 v2, vcc_lo, s11, v2, vcc_lo
	global_load_b64 v[78:79], v15, s[0:1] offset:4096
	global_load_b128 v[14:17], v[1:2], off offset:528
	s_clause 0x2
	global_load_b64 v[1:2], v19, s[0:1] offset:4096
	global_load_b64 v[80:81], v18, s[0:1] offset:4096
	;; [unrolled: 1-line block ×3, first 2 shown]
	v_lshrrev_b32_e32 v3, 13, v26
	v_lshrrev_b32_e32 v18, 13, v86
	v_mul_f32_e32 v19, v39, v41
	v_mul_f32_e32 v26, v38, v41
	v_lshrrev_b32_e32 v20, 13, v82
	v_and_b32_e32 v3, 0x7f8, v3
	v_and_b32_e32 v18, 0x7f8, v18
	v_fma_f32 v82, v38, v40, -v19
	v_fmac_f32_e32 v26, v39, v40
	v_mul_f32_e32 v86, v44, v43
	s_clause 0x1
	global_load_b64 v[38:39], v3, s[0:1] offset:4096
	global_load_b64 v[40:41], v18, s[0:1] offset:4096
	v_lshrrev_b32_e32 v18, 13, v87
	v_mul_f32_e32 v3, v45, v43
	v_dual_fmac_f32 v86, v45, v42 :: v_dual_and_b32 v19, 0x7f8, v20
	v_mul_f32_e32 v20, v47, v49
	s_delay_alu instid0(VALU_DEP_4) | instskip(NEXT) | instid1(VALU_DEP_4)
	v_and_b32_e32 v18, 0x7f8, v18
	v_fma_f32 v87, v44, v42, -v3
	global_load_b64 v[42:43], v19, s[0:1] offset:4096
	v_lshrrev_b32_e32 v3, 13, v84
	v_mul_f32_e32 v84, v46, v49
	global_load_b64 v[44:45], v18, s[0:1] offset:4096
	v_lshrrev_b32_e32 v19, 13, v88
	v_mul_f32_e32 v18, v51, v53
	v_fma_f32 v88, v46, v48, -v20
	v_fmac_f32_e32 v84, v47, v48
	v_cmp_lt_u32_e32 vcc_lo, 0x3ef, v0
	v_and_b32_e32 v19, 0x7f8, v19
	v_fma_f32 v99, v50, v52, -v18
	global_load_b64 v[48:49], v19, s[0:1] offset:4096
	ds_load_2addr_b64 v[18:21], v9 offset1:252
	v_fma_f32 v9, v64, v66, -v22
	ds_load_2addr_b64 v[22:25], v8 offset1:252
	ds_load_b64 v[7:8], v7
	v_and_b32_e32 v3, 0x7f8, v3
	global_load_b64 v[46:47], v3, s[0:1] offset:4096
	v_lshrrev_b32_e32 v3, 13, v89
	v_mul_f32_e32 v89, v50, v53
	s_delay_alu instid0(VALU_DEP_2) | instskip(NEXT) | instid1(VALU_DEP_2)
	v_and_b32_e32 v3, 0x7f8, v3
	v_fmac_f32_e32 v89, v51, v52
	global_load_b64 v[50:51], v3, s[0:1] offset:4096
	v_lshrrev_b32_e32 v3, 13, v85
	v_mul_f32_e32 v85, v56, v55
	s_delay_alu instid0(VALU_DEP_2) | instskip(NEXT) | instid1(VALU_DEP_2)
	v_and_b32_e32 v3, 0x7f8, v3
	v_fmac_f32_e32 v85, v57, v54
	global_load_b64 v[52:53], v3, s[0:1] offset:4096
	v_mul_f32_e32 v3, v57, v55
	v_mul_f32_e32 v57, v60, v63
	s_delay_alu instid0(VALU_DEP_2) | instskip(SKIP_2) | instid1(VALU_DEP_4)
	v_fma_f32 v56, v56, v54, -v3
	v_mul_f32_e32 v3, v61, v63
	v_mul_f32_e32 v63, v64, v67
	v_fmac_f32_e32 v57, v61, v62
	ds_load_b64 v[54:55], v5
	ds_load_b64 v[5:6], v6
	v_fma_f32 v60, v60, v62, -v3
	v_fmac_f32_e32 v63, v65, v66
	s_wait_loadcnt 0x14
	v_mul_f32_e32 v3, v69, v59
	v_mul_f32_e32 v59, v68, v59
	s_delay_alu instid0(VALU_DEP_2) | instskip(NEXT) | instid1(VALU_DEP_2)
	v_fma_f32 v61, v68, v58, -v3
	v_fmac_f32_e32 v59, v69, v58
	s_wait_loadcnt 0x12
	v_mul_f32_e32 v3, v71, v73
	s_wait_loadcnt 0x10
	v_mul_f32_e32 v65, v34, v75
	v_mul_f32_e32 v62, v35, v75
	;; [unrolled: 1-line block ×3, first 2 shown]
	v_fma_f32 v64, v70, v72, -v3
	s_delay_alu instid0(VALU_DEP_4) | instskip(NEXT) | instid1(VALU_DEP_4)
	v_fmac_f32_e32 v65, v35, v74
	v_fma_f32 v34, v34, v74, -v62
	s_wait_loadcnt_dscnt 0xf04
	v_mul_f32_e32 v66, v11, v20
	s_wait_dscnt 0x3
	v_mul_f32_e32 v35, v13, v24
	v_mul_f32_e32 v11, v11, v21
	v_dual_mul_f32 v13, v13, v25 :: v_dual_fmac_f32 v58, v71, v72
	v_fma_f32 v21, v10, v21, -v66
	s_delay_alu instid0(VALU_DEP_4) | instskip(NEXT) | instid1(VALU_DEP_4)
	v_fma_f32 v25, v12, v25, -v35
	v_fmac_f32_e32 v11, v10, v20
	s_delay_alu instid0(VALU_DEP_4)
	v_fmac_f32_e32 v13, v12, v24
	v_add_f32_e32 v10, v92, v93
	v_add_f32_e32 v12, v90, v91
	s_wait_dscnt 0x2
	v_add_f32_e32 v20, v8, v92
	ds_load_b64 v[3:4], v4
	v_sub_f32_e32 v24, v92, v93
	v_fma_f32 v8, -0.5, v10, v8
	v_fma_f32 v10, -0.5, v12, v7
	v_dual_add_f32 v7, v7, v90 :: v_dual_add_f32 v12, v20, v93
	s_wait_loadcnt 0xd
	v_mul_f32_e32 v35, v76, v32
	v_mul_f32_e32 v32, v77, v32
	s_wait_loadcnt 0xb
	v_mul_f32_e32 v68, v17, v23
	v_mul_f32_e32 v20, v15, v18
	v_mul_f32_e32 v62, v15, v19
	v_dual_add_f32 v66, v7, v91 :: v_dual_mul_f32 v7, v17, v22
	v_sub_f32_e32 v17, v94, v96
	v_sub_f32_e32 v15, v90, v91
	v_fma_f32 v67, v14, v19, -v20
	v_fmac_f32_e32 v62, v14, v18
	v_add_f32_e32 v14, v95, v33
	v_sub_f32_e32 v18, v95, v33
	v_fma_f32 v69, v16, v23, -v7
	v_dual_add_f32 v7, v94, v96 :: v_dual_fmac_f32 v68, v16, v22
	s_wait_loadcnt 0xa
	v_dual_mul_f32 v23, v82, v79 :: v_dual_mul_f32 v20, v97, v2
	s_wait_loadcnt 0x9
	v_dual_mul_f32 v71, v84, v81 :: v_dual_mul_f32 v2, v98, v2
	v_mul_f32_e32 v22, v26, v79
	s_wait_loadcnt 0x8
	v_mul_f32_e32 v70, v86, v37
	v_mul_f32_e32 v37, v87, v37
	s_wait_dscnt 0x2
	v_dual_add_f32 v16, v55, v95 :: v_dual_add_f32 v19, v54, v94
	v_fma_f32 v20, v1, v98, -v20
	v_fmac_f32_e32 v2, v1, v97
	s_wait_loadcnt 0x5
	v_mul_f32_e32 v1, v89, v43
	v_mul_f32_e32 v43, v99, v43
	v_dual_fmac_f32 v23, v78, v26 :: v_dual_mul_f32 v26, v57, v41
	v_mul_f32_e32 v41, v60, v41
	v_fma_f32 v22, v78, v82, -v22
	s_wait_loadcnt 0x4
	v_dual_mul_f32 v74, v63, v45 :: v_dual_fmac_f32 v37, v36, v86
	v_fma_f32 v70, v36, v87, -v70
	v_mul_f32_e32 v45, v9, v45
	v_fma_f32 v14, -0.5, v14, v55
	v_fma_f32 v54, -0.5, v7, v54
	s_wait_loadcnt 0x3
	v_mul_f32_e32 v75, v58, v49
	v_mul_f32_e32 v49, v64, v49
	v_dual_fmamk_f32 v55, v15, 0xbf5db3d7, v8 :: v_dual_add_f32 v16, v16, v33
	v_fmac_f32_e32 v8, 0x3f5db3d7, v15
	v_fmamk_f32 v78, v24, 0x3f5db3d7, v10
	v_dual_fmac_f32 v10, 0xbf5db3d7, v24 :: v_dual_add_f32 v15, v21, v25
	v_dual_mul_f32 v72, v88, v81 :: v_dual_mul_f32 v73, v85, v39
	s_wait_loadcnt 0x2
	v_mul_f32_e32 v36, v59, v47
	v_mul_f32_e32 v47, v61, v47
	;; [unrolled: 1-line block ×3, first 2 shown]
	v_add_f32_e32 v19, v19, v96
	v_fma_f32 v24, v80, v88, -v71
	v_fma_f32 v26, v40, v60, -v26
	v_fmac_f32_e32 v41, v40, v57
	v_fma_f32 v36, v46, v61, -v36
	v_fmac_f32_e32 v47, v46, v59
	;; [unrolled: 2-line block ×3, first 2 shown]
	s_wait_loadcnt 0x1
	v_dual_mul_f32 v7, v65, v51 :: v_dual_fmac_f32 v72, v80, v84
	v_mul_f32_e32 v33, v34, v51
	v_dual_sub_f32 v51, v11, v13 :: v_dual_mul_f32 v58, v10, v23
	v_fmamk_f32 v46, v18, 0x3f5db3d7, v54
	v_fmac_f32_e32 v54, 0xbf5db3d7, v18
	s_wait_dscnt 0x1
	v_fma_f32 v48, -0.5, v15, v6
	v_sub_f32_e32 v71, v21, v25
	v_add_f32_e32 v79, v11, v13
	v_add_f32_e32 v11, v5, v11
	v_fma_f32 v80, v42, v99, -v1
	v_fmac_f32_e32 v43, v42, v89
	v_fma_f32 v42, v38, v56, -v73
	v_fmac_f32_e32 v39, v38, v85
	;; [unrolled: 2-line block ×3, first 2 shown]
	v_fma_f32 v34, v50, v34, -v7
	v_dual_fmamk_f32 v44, v17, 0xbf5db3d7, v14 :: v_dual_fmac_f32 v33, v50, v65
	v_fmac_f32_e32 v14, 0x3f5db3d7, v17
	v_fma_f32 v50, -0.5, v79, v5
	v_add_f32_e32 v21, v6, v21
	v_dual_add_f32 v17, v62, v68 :: v_dual_add_f32 v6, v67, v69
	v_dual_sub_f32 v56, v67, v69 :: v_dual_mul_f32 v5, v8, v23
	s_delay_alu instid0(VALU_DEP_3) | instskip(SKIP_1) | instid1(VALU_DEP_3)
	v_add_f32_e32 v18, v21, v25
	s_wait_dscnt 0x0
	v_fma_f32 v61, -0.5, v17, v3
	v_add_f32_e32 v21, v11, v13
	v_mul_f32_e32 v23, v66, v37
	v_mul_f32_e32 v7, v12, v37
	;; [unrolled: 1-line block ×8, first 2 shown]
	v_fmamk_f32 v43, v51, 0xbf5db3d7, v48
	v_fmac_f32_e32 v48, 0x3f5db3d7, v51
	v_dual_fmamk_f32 v60, v71, 0x3f5db3d7, v50 :: v_dual_sub_f32 v25, v62, v68
	v_dual_fmac_f32 v50, 0xbf5db3d7, v71 :: v_dual_mul_f32 v1, v55, v2
	v_mul_f32_e32 v51, v21, v47
	v_mul_f32_e32 v15, v18, v47
	v_fma_f32 v47, -0.5, v6, v4
	v_fmac_f32_e32 v35, v77, v31
	v_mul_f32_e32 v57, v78, v2
	v_fma_f32 v6, v8, v22, -v58
	v_fma_f32 v8, v12, v70, -v23
	;; [unrolled: 1-line block ×3, first 2 shown]
	v_fmac_f32_e32 v11, v46, v24
	v_fmamk_f32 v24, v56, 0x3f5db3d7, v61
	v_fma_f32 v2, v55, v20, -v57
	v_fmac_f32_e32 v5, v10, v22
	v_mul_f32_e32 v17, v43, v41
	v_mul_f32_e32 v22, v50, v45
	v_dual_fmac_f32 v1, v78, v20 :: v_dual_mul_f32 v20, v60, v41
	v_fmamk_f32 v23, v25, 0xbf5db3d7, v47
	v_fmac_f32_e32 v61, 0xbf5db3d7, v56
	v_fmac_f32_e32 v47, 0x3f5db3d7, v25
	v_mul_f32_e32 v25, v24, v49
	v_fma_f32 v10, v16, v42, -v37
	v_fma_f32 v16, v18, v36, -v51
	v_fmac_f32_e32 v15, v21, v36
	v_fma_f32 v18, v43, v26, -v20
	v_fmac_f32_e32 v17, v60, v26
	v_mul_f32_e32 v21, v23, v49
	v_mul_f32_e32 v26, v61, v33
	v_fma_f32 v20, v48, v38, -v22
	v_fma_f32 v22, v23, v40, -v25
	v_mul_f32_e32 v23, v47, v33
	s_wait_alu 0xfffd
	v_cndmask_b32_e64 v33, 0, 0xd8, vcc_lo
	v_fmac_f32_e32 v21, v24, v40
	v_fma_f32 v24, v47, v34, -v26
	v_mad_co_u64_u32 v[25:26], null, s4, v28, 0
	v_add_f32_e32 v3, v3, v62
	v_add_nc_u32_e32 v39, v83, v33
	v_fma_f32 v36, v76, v31, -v32
	v_fmac_f32_e32 v9, v19, v42
	s_delay_alu instid0(VALU_DEP_4) | instskip(SKIP_3) | instid1(VALU_DEP_4)
	v_dual_mul_f32 v19, v48, v45 :: v_dual_add_f32 v40, v3, v68
	v_mov_b32_e32 v3, v26
	v_mad_co_u64_u32 v[31:32], null, s2, v39, 0
	v_add_f32_e32 v37, v4, v67
	v_fmac_f32_e32 v19, v50, v38
	s_delay_alu instid0(VALU_DEP_4)
	v_mad_co_u64_u32 v[3:4], null, s5, v28, v[3:4]
	s_wait_loadcnt 0x0
	v_mul_f32_e32 v38, v35, v53
	v_mul_f32_e32 v33, v36, v53
	v_mov_b32_e32 v4, v32
	v_add_f32_e32 v28, v37, v69
	v_fmac_f32_e32 v23, v61, v34
	v_fma_f32 v37, v52, v36, -v38
	v_mov_b32_e32 v26, v3
	v_mad_co_u64_u32 v[3:4], null, s3, v39, v[4:5]
	v_fmac_f32_e32 v33, v52, v35
	v_add_nc_u32_e32 v38, 0x48, v39
	s_delay_alu instid0(VALU_DEP_4) | instskip(SKIP_1) | instid1(VALU_DEP_3)
	v_lshlrev_b64_e32 v[25:26], 3, v[25:26]
                                        ; kill: def $vgpr4 killed $sgpr0 killed $exec
	s_lshl_b64 s[0:1], s[6:7], 3
	v_mul_f32_e32 v34, v40, v33
	v_mul_f32_e32 v33, v28, v33
	v_mad_co_u64_u32 v[35:36], null, s2, v38, 0
	v_mov_b32_e32 v32, v3
	s_add_nc_u64 s[0:1], s[8:9], s[0:1]
	v_fma_f32 v34, v28, v37, -v34
	v_fmac_f32_e32 v33, v40, v37
	v_add_co_u32 v37, vcc_lo, s0, v25
	s_wait_alu 0xfffd
	v_add_co_ci_u32_e32 v40, vcc_lo, s1, v26, vcc_lo
	v_lshlrev_b64_e32 v[25:26], 3, v[31:32]
	v_dual_mov_b32 v3, v36 :: v_dual_add_nc_u32 v28, 0x90, v39
	s_delay_alu instid0(VALU_DEP_1) | instskip(NEXT) | instid1(VALU_DEP_2)
	v_mad_co_u64_u32 v[3:4], null, s3, v38, v[3:4]
	v_mad_co_u64_u32 v[31:32], null, s2, v28, 0
	s_delay_alu instid0(VALU_DEP_4) | instskip(SKIP_3) | instid1(VALU_DEP_4)
	v_add_co_u32 v25, vcc_lo, v37, v25
	s_wait_alu 0xfffd
	v_add_co_ci_u32_e32 v26, vcc_lo, v40, v26, vcc_lo
	v_cmp_lt_u32_e32 vcc_lo, 0x2f3, v0
	v_dual_mov_b32 v36, v3 :: v_dual_mov_b32 v3, v32
	global_store_b64 v[25:26], v[33:34], off
	s_wait_alu 0xfffd
	v_cndmask_b32_e64 v4, 0, 0x90, vcc_lo
	v_lshlrev_b64_e32 v[25:26], 3, v[35:36]
	s_delay_alu instid0(VALU_DEP_2) | instskip(SKIP_1) | instid1(VALU_DEP_3)
	v_add_nc_u32_e32 v30, v30, v4
	v_mad_co_u64_u32 v[3:4], null, s3, v28, v[3:4]
	v_add_co_u32 v25, vcc_lo, v37, v25
	s_delay_alu instid0(VALU_DEP_3) | instskip(SKIP_2) | instid1(VALU_DEP_4)
	v_mad_co_u64_u32 v[33:34], null, s2, v30, 0
	s_wait_alu 0xfffd
	v_add_co_ci_u32_e32 v26, vcc_lo, v40, v26, vcc_lo
	v_dual_mov_b32 v32, v3 :: v_dual_add_nc_u32 v35, 0x48, v30
	v_cmp_lt_u32_e32 vcc_lo, 0x1f7, v0
	global_store_b64 v[25:26], v[23:24], off
	v_mov_b32_e32 v28, v34
	v_lshlrev_b64_e32 v[23:24], 3, v[31:32]
	v_add_nc_u32_e32 v32, 0x90, v30
	v_mad_co_u64_u32 v[3:4], null, s2, v35, 0
	s_delay_alu instid0(VALU_DEP_4) | instskip(NEXT) | instid1(VALU_DEP_3)
	v_mad_co_u64_u32 v[25:26], null, s3, v30, v[28:29]
	v_mad_co_u64_u32 v[30:31], null, s2, v32, 0
	s_wait_alu 0xfffd
	v_cndmask_b32_e64 v26, 0, 0x90, vcc_lo
	v_add_co_u32 v23, vcc_lo, v37, v23
	s_wait_alu 0xfffd
	v_add_co_ci_u32_e32 v24, vcc_lo, v40, v24, vcc_lo
	s_delay_alu instid0(VALU_DEP_3) | instskip(SKIP_3) | instid1(VALU_DEP_4)
	v_add_nc_u32_e32 v28, v27, v26
	v_mov_b32_e32 v34, v25
	v_mad_co_u64_u32 v[25:26], null, s3, v35, v[4:5]
	v_mov_b32_e32 v4, v31
	v_mad_co_u64_u32 v[26:27], null, s2, v28, 0
	global_store_b64 v[23:24], v[21:22], off
	v_lshlrev_b64_e32 v[21:22], 3, v[33:34]
	v_mad_co_u64_u32 v[23:24], null, s3, v32, v[4:5]
	v_dual_mov_b32 v4, v25 :: v_dual_fmac_f32 v7, v66, v70
	v_mov_b32_e32 v24, v27
	s_delay_alu instid0(VALU_DEP_4)
	v_add_co_u32 v21, vcc_lo, v37, v21
	s_wait_alu 0xfffd
	v_add_co_ci_u32_e32 v22, vcc_lo, v40, v22, vcc_lo
	v_mov_b32_e32 v31, v23
	v_lshlrev_b64_e32 v[3:4], 3, v[3:4]
	v_mad_co_u64_u32 v[23:24], null, s3, v28, v[24:25]
	global_store_b64 v[21:22], v[15:16], off
	v_lshlrev_b64_e32 v[15:16], 3, v[30:31]
	v_add_nc_u32_e32 v24, 0x48, v28
	v_add_co_u32 v3, vcc_lo, v37, v3
	s_wait_alu 0xfffd
	v_add_co_ci_u32_e32 v4, vcc_lo, v40, v4, vcc_lo
	s_delay_alu instid0(VALU_DEP_3)
	v_mad_co_u64_u32 v[21:22], null, s2, v24, 0
	v_add_co_u32 v15, vcc_lo, v37, v15
	v_mov_b32_e32 v27, v23
	s_wait_alu 0xfffd
	v_add_co_ci_u32_e32 v16, vcc_lo, v40, v16, vcc_lo
	v_cmp_lt_u32_e32 vcc_lo, 0xfb, v0
	global_store_b64 v[3:4], v[19:20], off
	v_lshlrev_b64_e32 v[3:4], 3, v[26:27]
	global_store_b64 v[15:16], v[17:18], off
	v_mov_b32_e32 v15, v22
	s_wait_alu 0xfffd
	v_cndmask_b32_e64 v0, 0, 0x90, vcc_lo
	v_add_nc_u32_e32 v19, 0x90, v28
	v_fma_f32 v14, v14, v80, -v59
	v_add_co_u32 v3, vcc_lo, v37, v3
	v_mad_co_u64_u32 v[15:16], null, s3, v24, v[15:16]
	v_add_nc_u32_e32 v23, v29, v0
	v_mad_co_u64_u32 v[16:17], null, s2, v19, 0
	s_wait_alu 0xfffd
	v_add_co_ci_u32_e32 v4, vcc_lo, v40, v4, vcc_lo
	s_delay_alu instid0(VALU_DEP_3)
	v_add_nc_u32_e32 v25, 0x48, v23
	v_dual_fmac_f32 v13, v54, v80 :: v_dual_mov_b32 v22, v15
	global_store_b64 v[3:4], v[9:10], off
	v_mov_b32_e32 v0, v17
	v_mad_co_u64_u32 v[3:4], null, s2, v23, 0
	v_mad_co_u64_u32 v[9:10], null, s2, v25, 0
	v_add_nc_u32_e32 v15, 0x90, v23
	s_delay_alu instid0(VALU_DEP_4) | instskip(SKIP_2) | instid1(VALU_DEP_4)
	v_mad_co_u64_u32 v[19:20], null, s3, v19, v[0:1]
	v_lshlrev_b64_e32 v[17:18], 3, v[21:22]
	v_mad_co_u64_u32 v[20:21], null, s3, v23, v[4:5]
	v_mad_co_u64_u32 v[21:22], null, s2, v15, 0
	v_mov_b32_e32 v0, v10
	s_delay_alu instid0(VALU_DEP_4)
	v_add_co_u32 v23, vcc_lo, v37, v17
	s_wait_alu 0xfffd
	v_add_co_ci_u32_e32 v24, vcc_lo, v40, v18, vcc_lo
	v_mov_b32_e32 v17, v19
	v_mad_co_u64_u32 v[18:19], null, s3, v25, v[0:1]
	v_mov_b32_e32 v0, v22
	global_store_b64 v[23:24], v[13:14], off
	v_lshlrev_b64_e32 v[13:14], 3, v[16:17]
	v_mov_b32_e32 v4, v20
	v_mad_co_u64_u32 v[15:16], null, s3, v15, v[0:1]
	v_mov_b32_e32 v10, v18
	s_delay_alu instid0(VALU_DEP_3)
	v_lshlrev_b64_e32 v[3:4], 3, v[3:4]
	v_add_co_u32 v13, vcc_lo, v37, v13
	s_wait_alu 0xfffd
	v_add_co_ci_u32_e32 v14, vcc_lo, v40, v14, vcc_lo
	v_mov_b32_e32 v22, v15
	v_lshlrev_b64_e32 v[9:10], 3, v[9:10]
	v_add_co_u32 v3, vcc_lo, v37, v3
	s_wait_alu 0xfffd
	v_add_co_ci_u32_e32 v4, vcc_lo, v40, v4, vcc_lo
	v_lshlrev_b64_e32 v[15:16], 3, v[21:22]
	s_delay_alu instid0(VALU_DEP_4) | instskip(SKIP_2) | instid1(VALU_DEP_3)
	v_add_co_u32 v9, vcc_lo, v37, v9
	s_wait_alu 0xfffd
	v_add_co_ci_u32_e32 v10, vcc_lo, v40, v10, vcc_lo
	v_add_co_u32 v15, vcc_lo, v37, v15
	s_wait_alu 0xfffd
	v_add_co_ci_u32_e32 v16, vcc_lo, v40, v16, vcc_lo
	s_clause 0x3
	global_store_b64 v[13:14], v[11:12], off
	global_store_b64 v[3:4], v[7:8], off
	;; [unrolled: 1-line block ×4, first 2 shown]
.LBB0_12:
	s_nop 0
	s_sendmsg sendmsg(MSG_DEALLOC_VGPRS)
	s_endpgm
	.section	.rodata,"a",@progbits
	.p2align	6, 0x0
	.amdhsa_kernel fft_rtc_back_len216_factors_6_4_3_3_wgs_252_tpt_18_dim2_sp_ip_CI_sbcc_twdbase8_3step_dirReg
		.amdhsa_group_segment_fixed_size 0
		.amdhsa_private_segment_fixed_size 0
		.amdhsa_kernarg_size 88
		.amdhsa_user_sgpr_count 2
		.amdhsa_user_sgpr_dispatch_ptr 0
		.amdhsa_user_sgpr_queue_ptr 0
		.amdhsa_user_sgpr_kernarg_segment_ptr 1
		.amdhsa_user_sgpr_dispatch_id 0
		.amdhsa_user_sgpr_private_segment_size 0
		.amdhsa_wavefront_size32 1
		.amdhsa_uses_dynamic_stack 0
		.amdhsa_enable_private_segment 0
		.amdhsa_system_sgpr_workgroup_id_x 1
		.amdhsa_system_sgpr_workgroup_id_y 0
		.amdhsa_system_sgpr_workgroup_id_z 0
		.amdhsa_system_sgpr_workgroup_info 0
		.amdhsa_system_vgpr_workitem_id 0
		.amdhsa_next_free_vgpr 100
		.amdhsa_next_free_sgpr 23
		.amdhsa_reserve_vcc 1
		.amdhsa_float_round_mode_32 0
		.amdhsa_float_round_mode_16_64 0
		.amdhsa_float_denorm_mode_32 3
		.amdhsa_float_denorm_mode_16_64 3
		.amdhsa_fp16_overflow 0
		.amdhsa_workgroup_processor_mode 1
		.amdhsa_memory_ordered 1
		.amdhsa_forward_progress 0
		.amdhsa_round_robin_scheduling 0
		.amdhsa_exception_fp_ieee_invalid_op 0
		.amdhsa_exception_fp_denorm_src 0
		.amdhsa_exception_fp_ieee_div_zero 0
		.amdhsa_exception_fp_ieee_overflow 0
		.amdhsa_exception_fp_ieee_underflow 0
		.amdhsa_exception_fp_ieee_inexact 0
		.amdhsa_exception_int_div_zero 0
	.end_amdhsa_kernel
	.text
.Lfunc_end0:
	.size	fft_rtc_back_len216_factors_6_4_3_3_wgs_252_tpt_18_dim2_sp_ip_CI_sbcc_twdbase8_3step_dirReg, .Lfunc_end0-fft_rtc_back_len216_factors_6_4_3_3_wgs_252_tpt_18_dim2_sp_ip_CI_sbcc_twdbase8_3step_dirReg
                                        ; -- End function
	.section	.AMDGPU.csdata,"",@progbits
; Kernel info:
; codeLenInByte = 9160
; NumSgprs: 25
; NumVgprs: 100
; ScratchSize: 0
; MemoryBound: 0
; FloatMode: 240
; IeeeMode: 1
; LDSByteSize: 0 bytes/workgroup (compile time only)
; SGPRBlocks: 3
; VGPRBlocks: 12
; NumSGPRsForWavesPerEU: 25
; NumVGPRsForWavesPerEU: 100
; Occupancy: 12
; WaveLimiterHint : 1
; COMPUTE_PGM_RSRC2:SCRATCH_EN: 0
; COMPUTE_PGM_RSRC2:USER_SGPR: 2
; COMPUTE_PGM_RSRC2:TRAP_HANDLER: 0
; COMPUTE_PGM_RSRC2:TGID_X_EN: 1
; COMPUTE_PGM_RSRC2:TGID_Y_EN: 0
; COMPUTE_PGM_RSRC2:TGID_Z_EN: 0
; COMPUTE_PGM_RSRC2:TIDIG_COMP_CNT: 0
	.text
	.p2alignl 7, 3214868480
	.fill 96, 4, 3214868480
	.type	__hip_cuid_85ec9b5f7ad7912d,@object ; @__hip_cuid_85ec9b5f7ad7912d
	.section	.bss,"aw",@nobits
	.globl	__hip_cuid_85ec9b5f7ad7912d
__hip_cuid_85ec9b5f7ad7912d:
	.byte	0                               ; 0x0
	.size	__hip_cuid_85ec9b5f7ad7912d, 1

	.ident	"AMD clang version 19.0.0git (https://github.com/RadeonOpenCompute/llvm-project roc-6.4.0 25133 c7fe45cf4b819c5991fe208aaa96edf142730f1d)"
	.section	".note.GNU-stack","",@progbits
	.addrsig
	.addrsig_sym __hip_cuid_85ec9b5f7ad7912d
	.amdgpu_metadata
---
amdhsa.kernels:
  - .args:
      - .actual_access:  read_only
        .address_space:  global
        .offset:         0
        .size:           8
        .value_kind:     global_buffer
      - .address_space:  global
        .offset:         8
        .size:           8
        .value_kind:     global_buffer
      - .actual_access:  read_only
        .address_space:  global
        .offset:         16
        .size:           8
        .value_kind:     global_buffer
      - .actual_access:  read_only
        .address_space:  global
        .offset:         24
        .size:           8
        .value_kind:     global_buffer
      - .offset:         32
        .size:           8
        .value_kind:     by_value
      - .actual_access:  read_only
        .address_space:  global
        .offset:         40
        .size:           8
        .value_kind:     global_buffer
      - .actual_access:  read_only
        .address_space:  global
        .offset:         48
        .size:           8
        .value_kind:     global_buffer
      - .offset:         56
        .size:           4
        .value_kind:     by_value
      - .actual_access:  read_only
        .address_space:  global
        .offset:         64
        .size:           8
        .value_kind:     global_buffer
      - .actual_access:  read_only
        .address_space:  global
        .offset:         72
        .size:           8
        .value_kind:     global_buffer
      - .address_space:  global
        .offset:         80
        .size:           8
        .value_kind:     global_buffer
    .group_segment_fixed_size: 0
    .kernarg_segment_align: 8
    .kernarg_segment_size: 88
    .language:       OpenCL C
    .language_version:
      - 2
      - 0
    .max_flat_workgroup_size: 252
    .name:           fft_rtc_back_len216_factors_6_4_3_3_wgs_252_tpt_18_dim2_sp_ip_CI_sbcc_twdbase8_3step_dirReg
    .private_segment_fixed_size: 0
    .sgpr_count:     25
    .sgpr_spill_count: 0
    .symbol:         fft_rtc_back_len216_factors_6_4_3_3_wgs_252_tpt_18_dim2_sp_ip_CI_sbcc_twdbase8_3step_dirReg.kd
    .uniform_work_group_size: 1
    .uses_dynamic_stack: false
    .vgpr_count:     100
    .vgpr_spill_count: 0
    .wavefront_size: 32
    .workgroup_processor_mode: 1
amdhsa.target:   amdgcn-amd-amdhsa--gfx1201
amdhsa.version:
  - 1
  - 2
...

	.end_amdgpu_metadata
